;; amdgpu-corpus repo=ROCm/rocm-examples kind=compiled arch=gfx942 opt=O3
	.text
	.amdgcn_target "amdgcn-amd-amdhsa--gfx942"
	.amdhsa_code_object_version 6
	.protected	_Z9transposePKiPiii     ; -- Begin function _Z9transposePKiPiii
	.globl	_Z9transposePKiPiii
	.p2align	8
	.type	_Z9transposePKiPiii,@function
_Z9transposePKiPiii:                    ; @_Z9transposePKiPiii
; %bb.0:
	s_load_dwordx4 s[4:7], s[0:1], 0x0
	s_load_dword s10, s[0:1], 0x24
	s_load_dwordx2 s[8:9], s[0:1], 0x10
	v_bfe_u32 v4, v0, 10, 10
	v_and_b32_e32 v5, 0x3ff, v0
	s_waitcnt lgkmcnt(0)
	v_mov_b32_e32 v2, s4
	s_lshr_b32 s0, s10, 16
	s_mul_i32 s3, s3, s0
	s_and_b32 s1, s10, 0xffff
	v_add_u32_e32 v1, s3, v4
	s_mul_i32 s2, s2, s1
	v_mul_lo_u32 v1, v1, s8
	v_add3_u32 v0, s2, v5, v1
	v_mov_b32_e32 v3, s5
	v_ashrrev_i32_e32 v1, 31, v0
	v_lshl_add_u64 v[0:1], v[0:1], 2, v[2:3]
	global_load_dword v2, v[0:1], off
	v_lshlrev_b32_e32 v0, 2, v5
	v_lshlrev_b32_e32 v1, 2, v4
	v_lshl_add_u32 v3, v4, 7, v0
	v_lshl_add_u32 v6, v5, 7, v1
	v_add_u32_e32 v4, s2, v4
	v_mov_b32_e32 v0, s6
	v_mov_b32_e32 v1, s7
	s_waitcnt vmcnt(0)
	ds_write_b32 v3, v2
	s_waitcnt lgkmcnt(0)
	s_barrier
	ds_read_b32 v6, v6
	v_mul_lo_u32 v2, v4, s9
	v_add3_u32 v2, s3, v5, v2
	v_ashrrev_i32_e32 v3, 31, v2
	v_lshl_add_u64 v[0:1], v[2:3], 2, v[0:1]
	s_waitcnt lgkmcnt(0)
	global_store_dword v[0:1], v6, off
	s_endpgm
	.section	.rodata,"a",@progbits
	.p2align	6, 0x0
	.amdhsa_kernel _Z9transposePKiPiii
		.amdhsa_group_segment_fixed_size 4096
		.amdhsa_private_segment_fixed_size 0
		.amdhsa_kernarg_size 280
		.amdhsa_user_sgpr_count 2
		.amdhsa_user_sgpr_dispatch_ptr 0
		.amdhsa_user_sgpr_queue_ptr 0
		.amdhsa_user_sgpr_kernarg_segment_ptr 1
		.amdhsa_user_sgpr_dispatch_id 0
		.amdhsa_user_sgpr_kernarg_preload_length 0
		.amdhsa_user_sgpr_kernarg_preload_offset 0
		.amdhsa_user_sgpr_private_segment_size 0
		.amdhsa_uses_dynamic_stack 0
		.amdhsa_enable_private_segment 0
		.amdhsa_system_sgpr_workgroup_id_x 1
		.amdhsa_system_sgpr_workgroup_id_y 1
		.amdhsa_system_sgpr_workgroup_id_z 0
		.amdhsa_system_sgpr_workgroup_info 0
		.amdhsa_system_vgpr_workitem_id 1
		.amdhsa_next_free_vgpr 7
		.amdhsa_next_free_sgpr 11
		.amdhsa_accum_offset 8
		.amdhsa_reserve_vcc 0
		.amdhsa_float_round_mode_32 0
		.amdhsa_float_round_mode_16_64 0
		.amdhsa_float_denorm_mode_32 3
		.amdhsa_float_denorm_mode_16_64 3
		.amdhsa_dx10_clamp 1
		.amdhsa_ieee_mode 1
		.amdhsa_fp16_overflow 0
		.amdhsa_tg_split 0
		.amdhsa_exception_fp_ieee_invalid_op 0
		.amdhsa_exception_fp_denorm_src 0
		.amdhsa_exception_fp_ieee_div_zero 0
		.amdhsa_exception_fp_ieee_overflow 0
		.amdhsa_exception_fp_ieee_underflow 0
		.amdhsa_exception_fp_ieee_inexact 0
		.amdhsa_exception_int_div_zero 0
	.end_amdhsa_kernel
	.text
.Lfunc_end0:
	.size	_Z9transposePKiPiii, .Lfunc_end0-_Z9transposePKiPiii
                                        ; -- End function
	.section	.AMDGPU.csdata,"",@progbits
; Kernel info:
; codeLenInByte = 220
; NumSgprs: 17
; NumVgprs: 7
; NumAgprs: 0
; TotalNumVgprs: 7
; ScratchSize: 0
; MemoryBound: 0
; FloatMode: 240
; IeeeMode: 1
; LDSByteSize: 4096 bytes/workgroup (compile time only)
; SGPRBlocks: 2
; VGPRBlocks: 0
; NumSGPRsForWavesPerEU: 17
; NumVGPRsForWavesPerEU: 7
; AccumOffset: 8
; Occupancy: 8
; WaveLimiterHint : 0
; COMPUTE_PGM_RSRC2:SCRATCH_EN: 0
; COMPUTE_PGM_RSRC2:USER_SGPR: 2
; COMPUTE_PGM_RSRC2:TRAP_HANDLER: 0
; COMPUTE_PGM_RSRC2:TGID_X_EN: 1
; COMPUTE_PGM_RSRC2:TGID_Y_EN: 1
; COMPUTE_PGM_RSRC2:TGID_Z_EN: 0
; COMPUTE_PGM_RSRC2:TIDIG_COMP_CNT: 1
; COMPUTE_PGM_RSRC3_GFX90A:ACCUM_OFFSET: 1
; COMPUTE_PGM_RSRC3_GFX90A:TG_SPLIT: 0
	.text
	.protected	_Z15test_kern_largePm   ; -- Begin function _Z15test_kern_largePm
	.globl	_Z15test_kern_largePm
	.p2align	8
	.type	_Z15test_kern_largePm,@function
_Z15test_kern_largePm:                  ; @_Z15test_kern_largePm
; %bb.0:
	s_mov_b32 s4, 0x5050505
	s_mov_b32 s5, s4
	s_movk_i32 s2, 0xf060
	s_mov_b32 s6, s4
	s_mov_b32 s7, s4
	v_mov_b64_e32 v[0:1], s[4:5]
	v_mov_b32_e32 v4, 16
	s_mov_b32 s3, -1
	v_mov_b64_e32 v[2:3], s[6:7]
.LBB1_1:                                ; =>This Inner Loop Header: Depth=1
	s_add_u32 s2, s2, 0x50
	s_addc_u32 s3, s3, 0
	scratch_store_dwordx4 v4, v[0:3], off
	scratch_store_dwordx4 v4, v[0:3], off offset:16
	scratch_store_dwordx4 v4, v[0:3], off offset:32
	;; [unrolled: 1-line block ×4, first 2 shown]
	s_cmp_lg_u64 s[2:3], 0
	v_add_u32_e32 v4, 0x50, v4
	s_cbranch_scc1 .LBB1_1
; %bb.2:
	s_load_dwordx2 s[0:1], s[0:1], 0x0
	s_mov_b32 s2, 0
	v_mov_b32_e32 v6, 16
	s_waitcnt lgkmcnt(0)
	s_load_dwordx2 s[4:5], s[0:1], 0x0
	s_waitcnt lgkmcnt(0)
	v_mov_b64_e32 v[4:5], s[4:5]
.LBB1_3:                                ; =>This Inner Loop Header: Depth=1
	s_add_i32 s4, s2, 16
	scratch_load_dwordx4 v[0:3], off, s4
	v_readfirstlane_b32 s3, v6
	s_add_i32 s3, s3, s2
	s_add_i32 s5, s3, 16
	;; [unrolled: 1-line block ×4, first 2 shown]
	scratch_load_dwordx4 v[8:11], off, s5
	scratch_load_dwordx4 v[12:15], off, s6
	;; [unrolled: 1-line block ×3, first 2 shown]
	s_add_i32 s2, s2, 64
	s_cmpk_eq_i32 s2, 0x3e80
	s_waitcnt vmcnt(3)
	v_add_u32_e32 v20, 7, v0
	v_add_u32_e32 v0, 7, v1
	v_ashrrev_i32_e32 v21, 31, v20
	v_add_u32_e32 v22, 7, v2
	v_ashrrev_i32_e32 v1, 31, v0
	v_lshl_add_u64 v[4:5], v[4:5], 0, v[20:21]
	v_ashrrev_i32_e32 v23, 31, v22
	v_mov_b32_e32 v21, v0
	v_lshl_add_u64 v[0:1], v[4:5], 0, v[0:1]
	v_lshl_add_u64 v[0:1], v[0:1], 0, v[22:23]
	v_add_u32_e32 v23, 7, v3
	s_waitcnt vmcnt(2)
	v_add_u32_e32 v24, 7, v8
	v_ashrrev_i32_e32 v3, 31, v23
	v_mov_b32_e32 v2, v23
	v_add_u32_e32 v8, 7, v9
	v_ashrrev_i32_e32 v25, 31, v24
	v_lshl_add_u64 v[0:1], v[0:1], 0, v[2:3]
	v_add_u32_e32 v26, 7, v10
	v_ashrrev_i32_e32 v9, 31, v8
	v_lshl_add_u64 v[0:1], v[0:1], 0, v[24:25]
	v_ashrrev_i32_e32 v27, 31, v26
	v_lshl_add_u64 v[0:1], v[0:1], 0, v[8:9]
	v_lshl_add_u64 v[0:1], v[0:1], 0, v[26:27]
	v_add_u32_e32 v27, 7, v11
	s_waitcnt vmcnt(1)
	v_add_u32_e32 v28, 7, v12
	v_ashrrev_i32_e32 v3, 31, v27
	v_mov_b32_e32 v2, v27
	v_add_u32_e32 v12, 7, v13
	v_ashrrev_i32_e32 v29, 31, v28
	v_lshl_add_u64 v[0:1], v[0:1], 0, v[2:3]
	v_add_u32_e32 v30, 7, v14
	v_ashrrev_i32_e32 v13, 31, v12
	v_lshl_add_u64 v[0:1], v[0:1], 0, v[28:29]
	v_ashrrev_i32_e32 v31, 31, v30
	;; [unrolled: 14-line block ×3, first 2 shown]
	v_lshl_add_u64 v[0:1], v[0:1], 0, v[16:17]
	v_lshl_add_u64 v[0:1], v[0:1], 0, v[34:35]
	v_add_u32_e32 v35, 7, v19
	v_ashrrev_i32_e32 v3, 31, v35
	v_mov_b32_e32 v2, v35
	v_mov_b32_e32 v25, v8
	;; [unrolled: 1-line block ×4, first 2 shown]
	v_lshl_add_u64 v[4:5], v[0:1], 0, v[2:3]
	scratch_store_dwordx4 off, v[20:23], s4
	scratch_store_dwordx4 off, v[24:27], s5
	;; [unrolled: 1-line block ×4, first 2 shown]
	s_cbranch_scc0 .LBB1_3
; %bb.4:
	v_mov_b32_e32 v0, 0
	global_store_dwordx2 v0, v[4:5], s[0:1]
	s_endpgm
	.section	.rodata,"a",@progbits
	.p2align	6, 0x0
	.amdhsa_kernel _Z15test_kern_largePm
		.amdhsa_group_segment_fixed_size 0
		.amdhsa_private_segment_fixed_size 16016
		.amdhsa_kernarg_size 8
		.amdhsa_user_sgpr_count 2
		.amdhsa_user_sgpr_dispatch_ptr 0
		.amdhsa_user_sgpr_queue_ptr 0
		.amdhsa_user_sgpr_kernarg_segment_ptr 1
		.amdhsa_user_sgpr_dispatch_id 0
		.amdhsa_user_sgpr_kernarg_preload_length 0
		.amdhsa_user_sgpr_kernarg_preload_offset 0
		.amdhsa_user_sgpr_private_segment_size 0
		.amdhsa_uses_dynamic_stack 0
		.amdhsa_enable_private_segment 1
		.amdhsa_system_sgpr_workgroup_id_x 1
		.amdhsa_system_sgpr_workgroup_id_y 0
		.amdhsa_system_sgpr_workgroup_id_z 0
		.amdhsa_system_sgpr_workgroup_info 0
		.amdhsa_system_vgpr_workitem_id 0
		.amdhsa_next_free_vgpr 36
		.amdhsa_next_free_sgpr 8
		.amdhsa_accum_offset 36
		.amdhsa_reserve_vcc 0
		.amdhsa_float_round_mode_32 0
		.amdhsa_float_round_mode_16_64 0
		.amdhsa_float_denorm_mode_32 3
		.amdhsa_float_denorm_mode_16_64 3
		.amdhsa_dx10_clamp 1
		.amdhsa_ieee_mode 1
		.amdhsa_fp16_overflow 0
		.amdhsa_tg_split 0
		.amdhsa_exception_fp_ieee_invalid_op 0
		.amdhsa_exception_fp_denorm_src 0
		.amdhsa_exception_fp_ieee_div_zero 0
		.amdhsa_exception_fp_ieee_overflow 0
		.amdhsa_exception_fp_ieee_underflow 0
		.amdhsa_exception_fp_ieee_inexact 0
		.amdhsa_exception_int_div_zero 0
	.end_amdhsa_kernel
	.text
.Lfunc_end1:
	.size	_Z15test_kern_largePm, .Lfunc_end1-_Z15test_kern_largePm
                                        ; -- End function
	.section	.AMDGPU.csdata,"",@progbits
; Kernel info:
; codeLenInByte = 564
; NumSgprs: 14
; NumVgprs: 36
; NumAgprs: 0
; TotalNumVgprs: 36
; ScratchSize: 16016
; MemoryBound: 0
; FloatMode: 240
; IeeeMode: 1
; LDSByteSize: 0 bytes/workgroup (compile time only)
; SGPRBlocks: 1
; VGPRBlocks: 4
; NumSGPRsForWavesPerEU: 14
; NumVGPRsForWavesPerEU: 36
; AccumOffset: 36
; Occupancy: 8
; WaveLimiterHint : 0
; COMPUTE_PGM_RSRC2:SCRATCH_EN: 1
; COMPUTE_PGM_RSRC2:USER_SGPR: 2
; COMPUTE_PGM_RSRC2:TRAP_HANDLER: 0
; COMPUTE_PGM_RSRC2:TGID_X_EN: 1
; COMPUTE_PGM_RSRC2:TGID_Y_EN: 0
; COMPUTE_PGM_RSRC2:TGID_Z_EN: 0
; COMPUTE_PGM_RSRC2:TIDIG_COMP_CNT: 0
; COMPUTE_PGM_RSRC3_GFX90A:ACCUM_OFFSET: 8
; COMPUTE_PGM_RSRC3_GFX90A:TG_SPLIT: 0
	.text
	.protected	_Z16test_kern_mediumPm  ; -- Begin function _Z16test_kern_mediumPm
	.globl	_Z16test_kern_mediumPm
	.p2align	8
	.type	_Z16test_kern_mediumPm,@function
_Z16test_kern_mediumPm:                 ; @_Z16test_kern_mediumPm
; %bb.0:
	v_mov_b32_e32 v0, 0x5050505
	s_mov_b64 s[2:3], 0xaf
	s_mov_b32 s6, 0
	v_mov_b32_e32 v7, 0
	v_mov_b32_e32 v4, 0x5050505
	;; [unrolled: 1-line block ×4, first 2 shown]
	s_branch .LBB2_2
.LBB2_1:                                ;   in Loop: Header=BB2_2 Depth=1
	s_andn2_b64 vcc, exec, s[4:5]
	s_cbranch_vccz .LBB2_4
.LBB2_2:                                ; =>This Inner Loop Header: Depth=1
	v_readfirstlane_b32 s7, v7
	s_add_i32 s4, s6, 0
	s_add_i32 s7, s7, s6
	scratch_store_dwordx3 off, v[4:6], s4
	s_and_b32 s4, s2, -4
	s_mov_b32 s5, s3
	s_cmp_eq_u64 s[4:5], 12
	s_mov_b64 s[4:5], -1
	s_cbranch_scc1 .LBB2_1
; %bb.3:                                ;   in Loop: Header=BB2_2 Depth=1
	s_add_i32 s4, s7, 12
	v_mov_b32_e32 v1, v0
	v_mov_b32_e32 v2, v0
	;; [unrolled: 1-line block ×3, first 2 shown]
	scratch_store_dwordx4 off, v[0:3], s4
	s_add_i32 s4, s7, 28
	s_add_u32 s2, s2, 0xffffffe0
	scratch_store_dword off, v0, s4
	s_addc_u32 s3, s3, -1
	s_add_i32 s6, s6, 32
	s_mov_b64 s[4:5], 0
	s_branch .LBB2_1
.LBB2_4:
	s_add_i32 s2, s7, 12
	s_add_i32 s7, s7, 14
	v_mov_b32_e32 v0, 5
	scratch_store_byte off, v0, s7
	v_mov_b32_e32 v0, 0x505
	scratch_store_short off, v0, s2
	scratch_load_dwordx4 v[0:3], off, off
	s_nop 0
	scratch_load_dwordx4 v[12:15], off, off offset:16
	scratch_load_dwordx4 v[16:19], off, off offset:32
	;; [unrolled: 1-line block ×7, first 2 shown]
	s_load_dwordx2 s[0:1], s[0:1], 0x0
	v_mov_b32_e32 v56, 0
	s_waitcnt lgkmcnt(0)
	s_load_dwordx2 s[2:3], s[0:1], 0x0
	s_waitcnt vmcnt(7)
	v_add_u32_e32 v0, 7, v0
	v_add_u32_e32 v62, 7, v1
	v_ashrrev_i32_e32 v1, 31, v0
	v_add_u32_e32 v2, 7, v2
	s_waitcnt vmcnt(5)
	v_add_u32_e32 v54, 7, v17
	v_add_u32_e32 v36, 7, v16
	v_ashrrev_i32_e32 v63, 31, v62
	s_waitcnt lgkmcnt(0)
	v_lshl_add_u64 v[16:17], s[2:3], 0, v[0:1]
	v_add_u32_e32 v64, 7, v3
	v_ashrrev_i32_e32 v3, 31, v2
	v_lshl_add_u64 v[16:17], v[16:17], 0, v[62:63]
	v_mov_b32_e32 v1, v62
	v_lshl_add_u64 v[16:17], v[16:17], 0, v[2:3]
	v_mov_b32_e32 v3, v64
	v_ashrrev_i32_e32 v65, 31, v64
	scratch_store_dwordx4 off, v[0:3], off
	v_add_u32_e32 v52, 7, v19
	v_add_u32_e32 v38, 7, v18
	s_waitcnt vmcnt(5)
	v_add_u32_e32 v50, 7, v21
	v_add_u32_e32 v32, 7, v20
	;; [unrolled: 1-line block ×4, first 2 shown]
	v_lshl_add_u64 v[0:1], v[16:17], 0, v[64:65]
	scratch_load_dwordx4 v[20:23], off, off offset:128
	scratch_load_dwordx4 v[16:19], off, off offset:144
	v_add_u32_e32 v12, 7, v12
	v_add_u32_e32 v66, 7, v13
	v_ashrrev_i32_e32 v13, 31, v12
	v_add_u32_e32 v14, 7, v14
	v_ashrrev_i32_e32 v67, 31, v66
	v_lshl_add_u64 v[0:1], v[0:1], 0, v[12:13]
	v_add_u32_e32 v68, 7, v15
	v_ashrrev_i32_e32 v15, 31, v14
	v_lshl_add_u64 v[0:1], v[0:1], 0, v[66:67]
	v_ashrrev_i32_e32 v69, 31, v68
	v_mov_b32_e32 v13, v66
	v_lshl_add_u64 v[0:1], v[0:1], 0, v[14:15]
	v_mov_b32_e32 v15, v68
	s_waitcnt vmcnt(6)
	v_add_u32_e32 v28, 7, v24
	s_waitcnt vmcnt(5)
	v_add_u32_e32 v42, 7, v59
	v_add_u32_e32 v24, 7, v58
	scratch_store_dwordx4 off, v[12:15], off offset:16
	v_lshl_add_u64 v[58:59], v[0:1], 0, v[68:69]
	v_ashrrev_i32_e32 v37, 31, v36
	scratch_load_dwordx4 v[12:15], off, off offset:160
	scratch_load_dwordx4 v[0:3], off, off offset:176
	v_ashrrev_i32_e32 v55, 31, v54
	v_lshl_add_u64 v[58:59], v[58:59], 0, v[36:37]
	v_ashrrev_i32_e32 v39, 31, v38
	v_mov_b32_e32 v37, v54
	v_lshl_add_u64 v[54:55], v[58:59], 0, v[54:55]
	v_ashrrev_i32_e32 v53, 31, v52
	v_lshl_add_u64 v[54:55], v[54:55], 0, v[38:39]
	v_mov_b32_e32 v39, v52
	v_ashrrev_i32_e32 v33, 31, v32
	scratch_store_dwordx4 off, v[36:39], off offset:32
	v_ashrrev_i32_e32 v51, 31, v50
	v_ashrrev_i32_e32 v35, 31, v34
	v_lshl_add_u64 v[36:37], v[54:55], 0, v[52:53]
	v_lshl_add_u64 v[36:37], v[36:37], 0, v[32:33]
	;; [unrolled: 1-line block ×3, first 2 shown]
	v_ashrrev_i32_e32 v49, 31, v48
	v_mov_b32_e32 v33, v50
	v_lshl_add_u64 v[36:37], v[36:37], 0, v[34:35]
	v_mov_b32_e32 v35, v48
	v_add_u32_e32 v46, 7, v25
	v_ashrrev_i32_e32 v29, 31, v28
	scratch_store_dwordx4 off, v[32:35], off offset:48
	v_add_u32_e32 v30, 7, v26
	v_ashrrev_i32_e32 v47, 31, v46
	v_lshl_add_u64 v[32:33], v[36:37], 0, v[48:49]
	v_lshl_add_u64 v[32:33], v[32:33], 0, v[28:29]
	v_add_u32_e32 v44, 7, v27
	v_ashrrev_i32_e32 v31, 31, v30
	v_lshl_add_u64 v[32:33], v[32:33], 0, v[46:47]
	v_ashrrev_i32_e32 v45, 31, v44
	v_mov_b32_e32 v29, v46
	v_lshl_add_u64 v[32:33], v[32:33], 0, v[30:31]
	v_mov_b32_e32 v31, v44
	v_ashrrev_i32_e32 v25, 31, v24
	scratch_store_dwordx4 off, v[28:31], off offset:64
	v_add_u32_e32 v26, 7, v60
	v_ashrrev_i32_e32 v43, 31, v42
	v_lshl_add_u64 v[28:29], v[32:33], 0, v[44:45]
	v_lshl_add_u64 v[28:29], v[28:29], 0, v[24:25]
	v_add_u32_e32 v40, 7, v61
	v_ashrrev_i32_e32 v27, 31, v26
	v_lshl_add_u64 v[28:29], v[28:29], 0, v[42:43]
	v_mov_b32_e32 v25, v42
	v_lshl_add_u64 v[28:29], v[28:29], 0, v[26:27]
	v_mov_b32_e32 v27, v40
	scratch_store_dwordx4 off, v[24:27], off offset:80
	scratch_load_dwordx4 v[24:27], off, off offset:192
	v_ashrrev_i32_e32 v41, 31, v40
	s_waitcnt vmcnt(12)
	v_add_u32_e32 v8, 7, v8
	v_lshl_add_u64 v[28:29], v[28:29], 0, v[40:41]
	v_add_u32_e32 v30, 7, v9
	v_ashrrev_i32_e32 v9, 31, v8
	v_lshl_add_u64 v[28:29], v[28:29], 0, v[8:9]
	v_ashrrev_i32_e32 v31, 31, v30
	v_add_u32_e32 v10, 7, v10
	v_mov_b32_e32 v9, v30
	v_lshl_add_u64 v[28:29], v[28:29], 0, v[30:31]
	scratch_store_dwordx3 off, v[8:10], off offset:96
	v_add_u32_e32 v30, 7, v11
	v_ashrrev_i32_e32 v31, 31, v30
	v_ashrrev_i32_e32 v9, 31, v10
	v_mov_b32_e32 v8, v10
	v_lshl_add_u64 v[28:29], v[28:29], 0, v[8:9]
	scratch_load_dwordx4 v[8:11], off, off offset:208
	v_lshl_add_u64 v[28:29], v[28:29], 0, v[30:31]
	s_waitcnt vmcnt(13)
	v_add_u32_e32 v30, 7, v4
	v_ashrrev_i32_e32 v31, 31, v30
	v_add_u32_e32 v4, 7, v5
	v_lshl_add_u64 v[28:29], v[28:29], 0, v[30:31]
	v_ashrrev_i32_e32 v5, 31, v4
	v_lshl_add_u64 v[4:5], v[28:29], 0, v[4:5]
	v_add_u32_e32 v28, 7, v6
	v_ashrrev_i32_e32 v29, 31, v28
	v_lshl_add_u64 v[28:29], v[4:5], 0, v[28:29]
	v_add_u32_e32 v30, 7, v7
	scratch_load_dwordx4 v[4:7], off, off offset:224
	v_ashrrev_i32_e32 v31, 31, v30
	v_lshl_add_u64 v[28:29], v[28:29], 0, v[30:31]
	s_waitcnt vmcnt(12)
	v_add_u32_e32 v30, 7, v20
	v_ashrrev_i32_e32 v31, 31, v30
	v_add_u32_e32 v20, 7, v21
	v_lshl_add_u64 v[28:29], v[28:29], 0, v[30:31]
	v_ashrrev_i32_e32 v21, 31, v20
	v_lshl_add_u64 v[20:21], v[28:29], 0, v[20:21]
	v_add_u32_e32 v28, 7, v22
	v_ashrrev_i32_e32 v29, 31, v28
	v_lshl_add_u64 v[28:29], v[20:21], 0, v[28:29]
	v_add_u32_e32 v30, 7, v23
	scratch_load_dwordx4 v[20:23], off, off offset:240
	v_ashrrev_i32_e32 v31, 31, v30
	v_lshl_add_u64 v[28:29], v[28:29], 0, v[30:31]
	s_waitcnt vmcnt(12)
	v_add_u32_e32 v30, 7, v16
	v_ashrrev_i32_e32 v31, 31, v30
	v_add_u32_e32 v16, 7, v17
	v_lshl_add_u64 v[28:29], v[28:29], 0, v[30:31]
	v_ashrrev_i32_e32 v17, 31, v16
	v_lshl_add_u64 v[16:17], v[28:29], 0, v[16:17]
	v_add_u32_e32 v28, 7, v18
	v_ashrrev_i32_e32 v29, 31, v28
	v_lshl_add_u64 v[28:29], v[16:17], 0, v[28:29]
	v_add_u32_e32 v30, 7, v19
	scratch_load_dwordx4 v[16:19], off, off offset:256
	v_ashrrev_i32_e32 v31, 31, v30
	v_lshl_add_u64 v[28:29], v[28:29], 0, v[30:31]
	s_waitcnt vmcnt(11)
	v_add_u32_e32 v30, 7, v12
	v_ashrrev_i32_e32 v31, 31, v30
	v_add_u32_e32 v12, 7, v13
	v_lshl_add_u64 v[28:29], v[28:29], 0, v[30:31]
	v_ashrrev_i32_e32 v13, 31, v12
	v_lshl_add_u64 v[12:13], v[28:29], 0, v[12:13]
	v_add_u32_e32 v28, 7, v14
	v_ashrrev_i32_e32 v29, 31, v28
	v_lshl_add_u64 v[28:29], v[12:13], 0, v[28:29]
	v_add_u32_e32 v30, 7, v15
	scratch_load_dwordx4 v[12:15], off, off offset:272
	v_ashrrev_i32_e32 v31, 31, v30
	v_lshl_add_u64 v[28:29], v[28:29], 0, v[30:31]
	s_waitcnt vmcnt(11)
	v_add_u32_e32 v30, 7, v0
	v_ashrrev_i32_e32 v31, 31, v30
	v_add_u32_e32 v0, 7, v1
	v_lshl_add_u64 v[28:29], v[28:29], 0, v[30:31]
	v_ashrrev_i32_e32 v1, 31, v0
	v_lshl_add_u64 v[0:1], v[28:29], 0, v[0:1]
	v_add_u32_e32 v28, 7, v2
	v_ashrrev_i32_e32 v29, 31, v28
	v_lshl_add_u64 v[28:29], v[0:1], 0, v[28:29]
	v_add_u32_e32 v30, 7, v3
	scratch_load_dwordx4 v[0:3], off, off offset:288
	v_ashrrev_i32_e32 v31, 31, v30
	v_lshl_add_u64 v[28:29], v[28:29], 0, v[30:31]
	s_waitcnt vmcnt(7)
	v_add_u32_e32 v30, 7, v24
	v_ashrrev_i32_e32 v31, 31, v30
	v_add_u32_e32 v24, 7, v25
	v_lshl_add_u64 v[28:29], v[28:29], 0, v[30:31]
	v_ashrrev_i32_e32 v25, 31, v24
	v_lshl_add_u64 v[24:25], v[28:29], 0, v[24:25]
	v_add_u32_e32 v28, 7, v26
	v_ashrrev_i32_e32 v29, 31, v28
	v_lshl_add_u64 v[28:29], v[24:25], 0, v[28:29]
	v_add_u32_e32 v30, 7, v27
	scratch_load_dwordx4 v[24:27], off, off offset:304
	v_ashrrev_i32_e32 v31, 31, v30
	v_lshl_add_u64 v[28:29], v[28:29], 0, v[30:31]
	s_waitcnt vmcnt(6)
	v_add_u32_e32 v30, 7, v8
	v_ashrrev_i32_e32 v31, 31, v30
	v_add_u32_e32 v8, 7, v9
	v_lshl_add_u64 v[28:29], v[28:29], 0, v[30:31]
	v_ashrrev_i32_e32 v9, 31, v8
	v_lshl_add_u64 v[8:9], v[28:29], 0, v[8:9]
	v_add_u32_e32 v28, 7, v10
	v_ashrrev_i32_e32 v29, 31, v28
	v_lshl_add_u64 v[28:29], v[8:9], 0, v[28:29]
	v_add_u32_e32 v30, 7, v11
	scratch_load_dwordx4 v[8:11], off, off offset:320
	v_ashrrev_i32_e32 v31, 31, v30
	v_lshl_add_u64 v[28:29], v[28:29], 0, v[30:31]
	s_waitcnt vmcnt(6)
	v_add_u32_e32 v30, 7, v4
	v_ashrrev_i32_e32 v31, 31, v30
	v_add_u32_e32 v4, 7, v5
	v_lshl_add_u64 v[28:29], v[28:29], 0, v[30:31]
	v_ashrrev_i32_e32 v5, 31, v4
	v_lshl_add_u64 v[4:5], v[28:29], 0, v[4:5]
	v_add_u32_e32 v28, 7, v6
	v_ashrrev_i32_e32 v29, 31, v28
	v_lshl_add_u64 v[28:29], v[4:5], 0, v[28:29]
	v_add_u32_e32 v30, 7, v7
	scratch_load_dwordx4 v[4:7], off, off offset:336
	v_ashrrev_i32_e32 v31, 31, v30
	v_lshl_add_u64 v[28:29], v[28:29], 0, v[30:31]
	s_waitcnt vmcnt(6)
	v_add_u32_e32 v30, 7, v20
	v_ashrrev_i32_e32 v31, 31, v30
	v_add_u32_e32 v20, 7, v21
	v_lshl_add_u64 v[28:29], v[28:29], 0, v[30:31]
	v_ashrrev_i32_e32 v21, 31, v20
	v_lshl_add_u64 v[20:21], v[28:29], 0, v[20:21]
	v_add_u32_e32 v28, 7, v22
	v_ashrrev_i32_e32 v29, 31, v28
	v_lshl_add_u64 v[28:29], v[20:21], 0, v[28:29]
	v_add_u32_e32 v30, 7, v23
	scratch_load_dwordx4 v[20:23], off, off offset:352
	v_ashrrev_i32_e32 v31, 31, v30
	v_lshl_add_u64 v[28:29], v[28:29], 0, v[30:31]
	s_waitcnt vmcnt(6)
	v_add_u32_e32 v30, 7, v16
	v_ashrrev_i32_e32 v31, 31, v30
	v_add_u32_e32 v16, 7, v17
	v_lshl_add_u64 v[28:29], v[28:29], 0, v[30:31]
	v_ashrrev_i32_e32 v17, 31, v16
	v_lshl_add_u64 v[16:17], v[28:29], 0, v[16:17]
	v_add_u32_e32 v28, 7, v18
	v_ashrrev_i32_e32 v29, 31, v28
	v_lshl_add_u64 v[28:29], v[16:17], 0, v[28:29]
	v_add_u32_e32 v30, 7, v19
	scratch_load_dwordx4 v[16:19], off, off offset:368
	v_ashrrev_i32_e32 v31, 31, v30
	v_lshl_add_u64 v[28:29], v[28:29], 0, v[30:31]
	s_waitcnt vmcnt(6)
	v_add_u32_e32 v30, 7, v12
	v_ashrrev_i32_e32 v31, 31, v30
	v_add_u32_e32 v12, 7, v13
	v_lshl_add_u64 v[28:29], v[28:29], 0, v[30:31]
	v_ashrrev_i32_e32 v13, 31, v12
	v_lshl_add_u64 v[12:13], v[28:29], 0, v[12:13]
	v_add_u32_e32 v28, 7, v14
	v_ashrrev_i32_e32 v29, 31, v28
	v_lshl_add_u64 v[28:29], v[12:13], 0, v[28:29]
	v_add_u32_e32 v30, 7, v15
	scratch_load_dwordx4 v[12:15], off, off offset:384
	v_ashrrev_i32_e32 v31, 31, v30
	v_lshl_add_u64 v[28:29], v[28:29], 0, v[30:31]
	s_waitcnt vmcnt(6)
	v_add_u32_e32 v30, 7, v0
	v_ashrrev_i32_e32 v31, 31, v30
	v_add_u32_e32 v0, 7, v1
	v_lshl_add_u64 v[28:29], v[28:29], 0, v[30:31]
	v_ashrrev_i32_e32 v1, 31, v0
	v_lshl_add_u64 v[0:1], v[28:29], 0, v[0:1]
	v_add_u32_e32 v28, 7, v2
	v_ashrrev_i32_e32 v29, 31, v28
	v_lshl_add_u64 v[28:29], v[0:1], 0, v[28:29]
	v_add_u32_e32 v30, 7, v3
	scratch_load_dwordx4 v[0:3], off, off offset:400
	v_ashrrev_i32_e32 v31, 31, v30
	v_lshl_add_u64 v[28:29], v[28:29], 0, v[30:31]
	s_waitcnt vmcnt(6)
	v_add_u32_e32 v30, 7, v24
	v_ashrrev_i32_e32 v31, 31, v30
	v_add_u32_e32 v24, 7, v25
	v_lshl_add_u64 v[28:29], v[28:29], 0, v[30:31]
	v_ashrrev_i32_e32 v25, 31, v24
	v_lshl_add_u64 v[24:25], v[28:29], 0, v[24:25]
	v_add_u32_e32 v28, 7, v26
	v_ashrrev_i32_e32 v29, 31, v28
	v_lshl_add_u64 v[28:29], v[24:25], 0, v[28:29]
	v_add_u32_e32 v30, 7, v27
	scratch_load_dwordx4 v[24:27], off, off offset:416
	v_ashrrev_i32_e32 v31, 31, v30
	v_lshl_add_u64 v[28:29], v[28:29], 0, v[30:31]
	s_waitcnt vmcnt(6)
	v_add_u32_e32 v30, 7, v8
	v_ashrrev_i32_e32 v31, 31, v30
	v_add_u32_e32 v8, 7, v9
	v_lshl_add_u64 v[28:29], v[28:29], 0, v[30:31]
	v_ashrrev_i32_e32 v9, 31, v8
	v_lshl_add_u64 v[8:9], v[28:29], 0, v[8:9]
	v_add_u32_e32 v28, 7, v10
	v_ashrrev_i32_e32 v29, 31, v28
	v_lshl_add_u64 v[28:29], v[8:9], 0, v[28:29]
	v_add_u32_e32 v30, 7, v11
	scratch_load_dwordx4 v[8:11], off, off offset:432
	v_ashrrev_i32_e32 v31, 31, v30
	v_lshl_add_u64 v[28:29], v[28:29], 0, v[30:31]
	s_waitcnt vmcnt(6)
	v_add_u32_e32 v30, 7, v4
	v_ashrrev_i32_e32 v31, 31, v30
	v_add_u32_e32 v4, 7, v5
	v_lshl_add_u64 v[28:29], v[28:29], 0, v[30:31]
	v_ashrrev_i32_e32 v5, 31, v4
	v_lshl_add_u64 v[4:5], v[28:29], 0, v[4:5]
	v_add_u32_e32 v28, 7, v6
	v_ashrrev_i32_e32 v29, 31, v28
	v_lshl_add_u64 v[4:5], v[4:5], 0, v[28:29]
	scratch_load_dwordx4 v[28:31], off, off offset:448
	v_add_u32_e32 v6, 7, v7
	v_ashrrev_i32_e32 v7, 31, v6
	v_lshl_add_u64 v[4:5], v[4:5], 0, v[6:7]
	s_waitcnt vmcnt(6)
	v_add_u32_e32 v6, 7, v20
	v_ashrrev_i32_e32 v7, 31, v6
	v_lshl_add_u64 v[4:5], v[4:5], 0, v[6:7]
	v_add_u32_e32 v6, 7, v21
	v_ashrrev_i32_e32 v7, 31, v6
	v_lshl_add_u64 v[4:5], v[4:5], 0, v[6:7]
	;; [unrolled: 3-line block ×3, first 2 shown]
	v_add_u32_e32 v6, 7, v23
	scratch_load_dwordx4 v[20:23], off, off offset:464
	v_ashrrev_i32_e32 v7, 31, v6
	v_lshl_add_u64 v[4:5], v[4:5], 0, v[6:7]
	s_waitcnt vmcnt(6)
	v_add_u32_e32 v6, 7, v16
	v_ashrrev_i32_e32 v7, 31, v6
	v_lshl_add_u64 v[4:5], v[4:5], 0, v[6:7]
	v_add_u32_e32 v6, 7, v17
	v_ashrrev_i32_e32 v7, 31, v6
	v_lshl_add_u64 v[4:5], v[4:5], 0, v[6:7]
	v_add_u32_e32 v6, 7, v18
	scratch_load_dwordx4 v[32:35], off, off offset:480
	scratch_load_dwordx4 v[36:39], off, off offset:496
	v_ashrrev_i32_e32 v7, 31, v6
	v_lshl_add_u64 v[4:5], v[4:5], 0, v[6:7]
	v_add_u32_e32 v6, 7, v19
	v_ashrrev_i32_e32 v7, 31, v6
	v_lshl_add_u64 v[4:5], v[4:5], 0, v[6:7]
	s_waitcnt vmcnt(7)
	v_add_u32_e32 v6, 7, v12
	v_ashrrev_i32_e32 v7, 31, v6
	v_lshl_add_u64 v[4:5], v[4:5], 0, v[6:7]
	v_add_u32_e32 v6, 7, v13
	v_ashrrev_i32_e32 v7, 31, v6
	v_lshl_add_u64 v[4:5], v[4:5], 0, v[6:7]
	;; [unrolled: 3-line block ×4, first 2 shown]
	s_waitcnt vmcnt(6)
	v_add_u32_e32 v6, 7, v0
	v_ashrrev_i32_e32 v7, 31, v6
	v_add_u32_e32 v0, 7, v1
	v_lshl_add_u64 v[4:5], v[4:5], 0, v[6:7]
	v_ashrrev_i32_e32 v1, 31, v0
	v_lshl_add_u64 v[0:1], v[4:5], 0, v[0:1]
	v_add_u32_e32 v4, 7, v2
	v_ashrrev_i32_e32 v5, 31, v4
	v_lshl_add_u64 v[4:5], v[0:1], 0, v[4:5]
	v_add_u32_e32 v6, 7, v3
	scratch_load_dwordx4 v[0:3], off, off offset:512
	v_ashrrev_i32_e32 v7, 31, v6
	v_lshl_add_u64 v[4:5], v[4:5], 0, v[6:7]
	s_waitcnt vmcnt(6)
	v_add_u32_e32 v6, 7, v24
	v_ashrrev_i32_e32 v7, 31, v6
	v_lshl_add_u64 v[4:5], v[4:5], 0, v[6:7]
	v_add_u32_e32 v6, 7, v25
	v_ashrrev_i32_e32 v7, 31, v6
	v_lshl_add_u64 v[4:5], v[4:5], 0, v[6:7]
	v_add_u32_e32 v6, 7, v26
	v_ashrrev_i32_e32 v7, 31, v6
	v_add_u32_e32 v14, 7, v27
	v_lshl_add_u64 v[12:13], v[4:5], 0, v[6:7]
	scratch_load_dwordx4 v[4:7], off, off offset:528
	v_ashrrev_i32_e32 v15, 31, v14
	v_lshl_add_u64 v[12:13], v[12:13], 0, v[14:15]
	s_waitcnt vmcnt(6)
	v_add_u32_e32 v14, 7, v8
	v_ashrrev_i32_e32 v15, 31, v14
	v_add_u32_e32 v8, 7, v9
	v_lshl_add_u64 v[12:13], v[12:13], 0, v[14:15]
	v_ashrrev_i32_e32 v9, 31, v8
	v_lshl_add_u64 v[8:9], v[12:13], 0, v[8:9]
	v_add_u32_e32 v12, 7, v10
	v_ashrrev_i32_e32 v13, 31, v12
	v_lshl_add_u64 v[12:13], v[8:9], 0, v[12:13]
	v_add_u32_e32 v14, 7, v11
	scratch_load_dwordx4 v[8:11], off, off offset:544
	v_ashrrev_i32_e32 v15, 31, v14
	v_lshl_add_u64 v[12:13], v[12:13], 0, v[14:15]
	s_waitcnt vmcnt(6)
	v_add_u32_e32 v14, 7, v28
	v_ashrrev_i32_e32 v15, 31, v14
	v_lshl_add_u64 v[12:13], v[12:13], 0, v[14:15]
	v_add_u32_e32 v14, 7, v29
	v_ashrrev_i32_e32 v15, 31, v14
	v_lshl_add_u64 v[12:13], v[12:13], 0, v[14:15]
	v_add_u32_e32 v14, 7, v30
	v_ashrrev_i32_e32 v15, 31, v14
	v_lshl_add_u64 v[16:17], v[12:13], 0, v[14:15]
	scratch_load_dwordx4 v[12:15], off, off offset:560
	v_add_u32_e32 v18, 7, v31
	v_ashrrev_i32_e32 v19, 31, v18
	v_lshl_add_u64 v[16:17], v[16:17], 0, v[18:19]
	s_waitcnt vmcnt(6)
	v_add_u32_e32 v18, 7, v20
	v_ashrrev_i32_e32 v19, 31, v18
	v_lshl_add_u64 v[16:17], v[16:17], 0, v[18:19]
	v_add_u32_e32 v18, 7, v21
	v_ashrrev_i32_e32 v19, 31, v18
	v_lshl_add_u64 v[16:17], v[16:17], 0, v[18:19]
	v_add_u32_e32 v18, 7, v22
	v_ashrrev_i32_e32 v19, 31, v18
	v_lshl_add_u64 v[20:21], v[16:17], 0, v[18:19]
	scratch_load_dwordx4 v[16:19], off, off offset:576
	v_add_u32_e32 v22, 7, v23
	;; [unrolled: 14-line block ×4, first 2 shown]
	v_ashrrev_i32_e32 v31, 31, v30
	v_lshl_add_u64 v[28:29], v[28:29], 0, v[30:31]
	s_waitcnt vmcnt(6)
	v_add_u32_e32 v30, 7, v0
	v_ashrrev_i32_e32 v31, 31, v30
	v_add_u32_e32 v0, 7, v1
	v_lshl_add_u64 v[28:29], v[28:29], 0, v[30:31]
	v_ashrrev_i32_e32 v1, 31, v0
	v_lshl_add_u64 v[0:1], v[28:29], 0, v[0:1]
	v_add_u32_e32 v28, 7, v2
	v_ashrrev_i32_e32 v29, 31, v28
	v_lshl_add_u64 v[0:1], v[0:1], 0, v[28:29]
	scratch_load_dwordx4 v[28:31], off, off offset:624
	v_add_u32_e32 v2, 7, v3
	v_ashrrev_i32_e32 v3, 31, v2
	v_lshl_add_u64 v[0:1], v[0:1], 0, v[2:3]
	s_waitcnt vmcnt(6)
	v_add_u32_e32 v2, 7, v4
	v_ashrrev_i32_e32 v3, 31, v2
	v_lshl_add_u64 v[0:1], v[0:1], 0, v[2:3]
	v_add_u32_e32 v2, 7, v5
	v_ashrrev_i32_e32 v3, 31, v2
	v_add_u32_e32 v32, 7, v6
	v_lshl_add_u64 v[4:5], v[0:1], 0, v[2:3]
	v_ashrrev_i32_e32 v33, 31, v32
	scratch_load_dwordx4 v[0:3], off, off offset:640
	v_add_u32_e32 v6, 7, v7
	v_lshl_add_u64 v[4:5], v[4:5], 0, v[32:33]
	v_ashrrev_i32_e32 v7, 31, v6
	v_lshl_add_u64 v[4:5], v[4:5], 0, v[6:7]
	s_waitcnt vmcnt(6)
	v_add_u32_e32 v6, 7, v8
	v_ashrrev_i32_e32 v7, 31, v6
	v_lshl_add_u64 v[4:5], v[4:5], 0, v[6:7]
	v_add_u32_e32 v6, 7, v9
	v_ashrrev_i32_e32 v7, 31, v6
	v_lshl_add_u64 v[8:9], v[4:5], 0, v[6:7]
	scratch_load_dwordx4 v[4:7], off, off offset:656
	v_add_u32_e32 v32, 7, v10
	v_ashrrev_i32_e32 v33, 31, v32
	v_add_u32_e32 v10, 7, v11
	v_lshl_add_u64 v[8:9], v[8:9], 0, v[32:33]
	v_ashrrev_i32_e32 v11, 31, v10
	v_lshl_add_u64 v[8:9], v[8:9], 0, v[10:11]
	s_waitcnt vmcnt(6)
	v_add_u32_e32 v10, 7, v12
	v_ashrrev_i32_e32 v11, 31, v10
	v_lshl_add_u64 v[8:9], v[8:9], 0, v[10:11]
	v_add_u32_e32 v10, 7, v13
	v_ashrrev_i32_e32 v11, 31, v10
	v_lshl_add_u64 v[12:13], v[8:9], 0, v[10:11]
	scratch_load_dwordx4 v[8:11], off, off offset:672
	v_add_u32_e32 v32, 7, v14
	v_ashrrev_i32_e32 v33, 31, v32
	v_add_u32_e32 v14, 7, v15
	v_lshl_add_u64 v[12:13], v[12:13], 0, v[32:33]
	v_ashrrev_i32_e32 v15, 31, v14
	v_lshl_add_u64 v[12:13], v[12:13], 0, v[14:15]
	s_waitcnt vmcnt(6)
	v_add_u32_e32 v14, 7, v16
	v_ashrrev_i32_e32 v15, 31, v14
	v_lshl_add_u64 v[32:33], v[12:13], 0, v[14:15]
	scratch_load_dwordx3 v[12:14], off, off offset:688
	v_add_u32_e32 v16, 7, v17
	v_ashrrev_i32_e32 v17, 31, v16
	v_lshl_add_u64 v[16:17], v[32:33], 0, v[16:17]
	v_add_u32_e32 v32, 7, v18
	v_ashrrev_i32_e32 v33, 31, v32
	v_add_u32_e32 v18, 7, v19
	v_lshl_add_u64 v[16:17], v[16:17], 0, v[32:33]
	v_ashrrev_i32_e32 v19, 31, v18
	v_lshl_add_u64 v[16:17], v[16:17], 0, v[18:19]
	s_waitcnt vmcnt(6)
	v_add_u32_e32 v18, 7, v20
	v_ashrrev_i32_e32 v19, 31, v18
	v_lshl_add_u64 v[16:17], v[16:17], 0, v[18:19]
	v_add_u32_e32 v18, 7, v21
	v_ashrrev_i32_e32 v19, 31, v18
	v_lshl_add_u64 v[16:17], v[16:17], 0, v[18:19]
	v_add_u32_e32 v18, 7, v22
	v_ashrrev_i32_e32 v19, 31, v18
	v_lshl_add_u64 v[16:17], v[16:17], 0, v[18:19]
	v_add_u32_e32 v18, 7, v23
	v_ashrrev_i32_e32 v19, 31, v18
	v_lshl_add_u64 v[16:17], v[16:17], 0, v[18:19]
	s_waitcnt vmcnt(5)
	v_add_u32_e32 v18, 7, v24
	v_ashrrev_i32_e32 v19, 31, v18
	v_lshl_add_u64 v[16:17], v[16:17], 0, v[18:19]
	v_add_u32_e32 v18, 7, v25
	v_ashrrev_i32_e32 v19, 31, v18
	v_lshl_add_u64 v[16:17], v[16:17], 0, v[18:19]
	v_add_u32_e32 v18, 7, v26
	v_ashrrev_i32_e32 v19, 31, v18
	v_lshl_add_u64 v[16:17], v[16:17], 0, v[18:19]
	v_add_u32_e32 v18, 7, v27
	;; [unrolled: 13-line block ×3, first 2 shown]
	v_ashrrev_i32_e32 v19, 31, v18
	v_lshl_add_u64 v[16:17], v[16:17], 0, v[18:19]
	s_waitcnt vmcnt(3)
	v_add_u32_e32 v18, 7, v0
	v_ashrrev_i32_e32 v19, 31, v18
	v_add_u32_e32 v0, 7, v1
	v_lshl_add_u64 v[16:17], v[16:17], 0, v[18:19]
	v_ashrrev_i32_e32 v1, 31, v0
	v_lshl_add_u64 v[0:1], v[16:17], 0, v[0:1]
	v_add_u32_e32 v16, 7, v2
	v_ashrrev_i32_e32 v17, 31, v16
	v_add_u32_e32 v2, 7, v3
	v_lshl_add_u64 v[0:1], v[0:1], 0, v[16:17]
	v_ashrrev_i32_e32 v3, 31, v2
	v_lshl_add_u64 v[0:1], v[0:1], 0, v[2:3]
	s_waitcnt vmcnt(2)
	v_add_u32_e32 v2, 7, v4
	v_ashrrev_i32_e32 v3, 31, v2
	v_lshl_add_u64 v[0:1], v[0:1], 0, v[2:3]
	v_add_u32_e32 v2, 7, v5
	v_ashrrev_i32_e32 v3, 31, v2
	v_lshl_add_u64 v[0:1], v[0:1], 0, v[2:3]
	;; [unrolled: 3-line block ×4, first 2 shown]
	s_waitcnt vmcnt(1)
	v_add_u32_e32 v2, 7, v8
	v_ashrrev_i32_e32 v3, 31, v2
	v_lshl_add_u64 v[0:1], v[0:1], 0, v[2:3]
	v_add_u32_e32 v2, 7, v9
	v_ashrrev_i32_e32 v3, 31, v2
	v_lshl_add_u64 v[0:1], v[0:1], 0, v[2:3]
	;; [unrolled: 3-line block ×4, first 2 shown]
	s_waitcnt vmcnt(0)
	v_add_u32_e32 v2, 7, v12
	v_ashrrev_i32_e32 v3, 31, v2
	v_lshl_add_u64 v[0:1], v[0:1], 0, v[2:3]
	v_add_u32_e32 v2, 7, v13
	v_ashrrev_i32_e32 v3, 31, v2
	v_lshl_add_u64 v[0:1], v[0:1], 0, v[2:3]
	;; [unrolled: 3-line block ×3, first 2 shown]
	global_store_dwordx2 v56, v[0:1], s[0:1]
	s_endpgm
	.section	.rodata,"a",@progbits
	.p2align	6, 0x0
	.amdhsa_kernel _Z16test_kern_mediumPm
		.amdhsa_group_segment_fixed_size 0
		.amdhsa_private_segment_fixed_size 704
		.amdhsa_kernarg_size 8
		.amdhsa_user_sgpr_count 2
		.amdhsa_user_sgpr_dispatch_ptr 0
		.amdhsa_user_sgpr_queue_ptr 0
		.amdhsa_user_sgpr_kernarg_segment_ptr 1
		.amdhsa_user_sgpr_dispatch_id 0
		.amdhsa_user_sgpr_kernarg_preload_length 0
		.amdhsa_user_sgpr_kernarg_preload_offset 0
		.amdhsa_user_sgpr_private_segment_size 0
		.amdhsa_uses_dynamic_stack 0
		.amdhsa_enable_private_segment 1
		.amdhsa_system_sgpr_workgroup_id_x 1
		.amdhsa_system_sgpr_workgroup_id_y 0
		.amdhsa_system_sgpr_workgroup_id_z 0
		.amdhsa_system_sgpr_workgroup_info 0
		.amdhsa_system_vgpr_workitem_id 0
		.amdhsa_next_free_vgpr 70
		.amdhsa_next_free_sgpr 8
		.amdhsa_accum_offset 72
		.amdhsa_reserve_vcc 1
		.amdhsa_float_round_mode_32 0
		.amdhsa_float_round_mode_16_64 0
		.amdhsa_float_denorm_mode_32 3
		.amdhsa_float_denorm_mode_16_64 3
		.amdhsa_dx10_clamp 1
		.amdhsa_ieee_mode 1
		.amdhsa_fp16_overflow 0
		.amdhsa_tg_split 0
		.amdhsa_exception_fp_ieee_invalid_op 0
		.amdhsa_exception_fp_denorm_src 0
		.amdhsa_exception_fp_ieee_div_zero 0
		.amdhsa_exception_fp_ieee_overflow 0
		.amdhsa_exception_fp_ieee_underflow 0
		.amdhsa_exception_fp_ieee_inexact 0
		.amdhsa_exception_int_div_zero 0
	.end_amdhsa_kernel
	.text
.Lfunc_end2:
	.size	_Z16test_kern_mediumPm, .Lfunc_end2-_Z16test_kern_mediumPm
                                        ; -- End function
	.section	.AMDGPU.csdata,"",@progbits
; Kernel info:
; codeLenInByte = 3668
; NumSgprs: 14
; NumVgprs: 70
; NumAgprs: 0
; TotalNumVgprs: 70
; ScratchSize: 704
; MemoryBound: 0
; FloatMode: 240
; IeeeMode: 1
; LDSByteSize: 0 bytes/workgroup (compile time only)
; SGPRBlocks: 1
; VGPRBlocks: 8
; NumSGPRsForWavesPerEU: 14
; NumVGPRsForWavesPerEU: 70
; AccumOffset: 72
; Occupancy: 7
; WaveLimiterHint : 0
; COMPUTE_PGM_RSRC2:SCRATCH_EN: 1
; COMPUTE_PGM_RSRC2:USER_SGPR: 2
; COMPUTE_PGM_RSRC2:TRAP_HANDLER: 0
; COMPUTE_PGM_RSRC2:TGID_X_EN: 1
; COMPUTE_PGM_RSRC2:TGID_Y_EN: 0
; COMPUTE_PGM_RSRC2:TGID_Z_EN: 0
; COMPUTE_PGM_RSRC2:TIDIG_COMP_CNT: 0
; COMPUTE_PGM_RSRC3_GFX90A:ACCUM_OFFSET: 17
; COMPUTE_PGM_RSRC3_GFX90A:TG_SPLIT: 0
	.text
	.protected	_Z15test_kern_smallPm   ; -- Begin function _Z15test_kern_smallPm
	.globl	_Z15test_kern_smallPm
	.p2align	8
	.type	_Z15test_kern_smallPm,@function
_Z15test_kern_smallPm:                  ; @_Z15test_kern_smallPm
; %bb.0:
	s_endpgm
	.section	.rodata,"a",@progbits
	.p2align	6, 0x0
	.amdhsa_kernel _Z15test_kern_smallPm
		.amdhsa_group_segment_fixed_size 0
		.amdhsa_private_segment_fixed_size 0
		.amdhsa_kernarg_size 8
		.amdhsa_user_sgpr_count 2
		.amdhsa_user_sgpr_dispatch_ptr 0
		.amdhsa_user_sgpr_queue_ptr 0
		.amdhsa_user_sgpr_kernarg_segment_ptr 1
		.amdhsa_user_sgpr_dispatch_id 0
		.amdhsa_user_sgpr_kernarg_preload_length 0
		.amdhsa_user_sgpr_kernarg_preload_offset 0
		.amdhsa_user_sgpr_private_segment_size 0
		.amdhsa_uses_dynamic_stack 0
		.amdhsa_enable_private_segment 0
		.amdhsa_system_sgpr_workgroup_id_x 1
		.amdhsa_system_sgpr_workgroup_id_y 0
		.amdhsa_system_sgpr_workgroup_id_z 0
		.amdhsa_system_sgpr_workgroup_info 0
		.amdhsa_system_vgpr_workitem_id 0
		.amdhsa_next_free_vgpr 1
		.amdhsa_next_free_sgpr 0
		.amdhsa_accum_offset 4
		.amdhsa_reserve_vcc 0
		.amdhsa_float_round_mode_32 0
		.amdhsa_float_round_mode_16_64 0
		.amdhsa_float_denorm_mode_32 3
		.amdhsa_float_denorm_mode_16_64 3
		.amdhsa_dx10_clamp 1
		.amdhsa_ieee_mode 1
		.amdhsa_fp16_overflow 0
		.amdhsa_tg_split 0
		.amdhsa_exception_fp_ieee_invalid_op 0
		.amdhsa_exception_fp_denorm_src 0
		.amdhsa_exception_fp_ieee_div_zero 0
		.amdhsa_exception_fp_ieee_overflow 0
		.amdhsa_exception_fp_ieee_underflow 0
		.amdhsa_exception_fp_ieee_inexact 0
		.amdhsa_exception_int_div_zero 0
	.end_amdhsa_kernel
	.text
.Lfunc_end3:
	.size	_Z15test_kern_smallPm, .Lfunc_end3-_Z15test_kern_smallPm
                                        ; -- End function
	.section	.AMDGPU.csdata,"",@progbits
; Kernel info:
; codeLenInByte = 4
; NumSgprs: 6
; NumVgprs: 0
; NumAgprs: 0
; TotalNumVgprs: 0
; ScratchSize: 0
; MemoryBound: 0
; FloatMode: 240
; IeeeMode: 1
; LDSByteSize: 0 bytes/workgroup (compile time only)
; SGPRBlocks: 0
; VGPRBlocks: 0
; NumSGPRsForWavesPerEU: 6
; NumVGPRsForWavesPerEU: 1
; AccumOffset: 4
; Occupancy: 8
; WaveLimiterHint : 0
; COMPUTE_PGM_RSRC2:SCRATCH_EN: 0
; COMPUTE_PGM_RSRC2:USER_SGPR: 2
; COMPUTE_PGM_RSRC2:TRAP_HANDLER: 0
; COMPUTE_PGM_RSRC2:TGID_X_EN: 1
; COMPUTE_PGM_RSRC2:TGID_Y_EN: 0
; COMPUTE_PGM_RSRC2:TGID_Z_EN: 0
; COMPUTE_PGM_RSRC2:TIDIG_COMP_CNT: 0
; COMPUTE_PGM_RSRC3_GFX90A:ACCUM_OFFSET: 0
; COMPUTE_PGM_RSRC3_GFX90A:TG_SPLIT: 0
	.section	.text._Z17test_page_migrateImEvPT_S0_,"axG",@progbits,_Z17test_page_migrateImEvPT_S0_,comdat
	.protected	_Z17test_page_migrateImEvPT_S0_ ; -- Begin function _Z17test_page_migrateImEvPT_S0_
	.globl	_Z17test_page_migrateImEvPT_S0_
	.p2align	8
	.type	_Z17test_page_migrateImEvPT_S0_,@function
_Z17test_page_migrateImEvPT_S0_:        ; @_Z17test_page_migrateImEvPT_S0_
; %bb.0:
	s_load_dwordx4 s[4:7], s[0:1], 0x0
	s_load_dword s3, s[0:1], 0x1c
	s_waitcnt lgkmcnt(0)
	v_mov_b32_e32 v2, s4
	s_and_b32 s0, s3, 0xffff
	s_mul_i32 s2, s2, s0
	v_add_u32_e32 v0, s2, v0
	v_mov_b32_e32 v3, s5
	v_ashrrev_i32_e32 v1, 31, v0
	v_lshl_add_u64 v[0:1], v[0:1], 3, v[2:3]
	global_load_dwordx2 v[2:3], v[0:1], off
	s_waitcnt vmcnt(0)
	v_lshl_add_u64 v[2:3], v[2:3], 0, s[6:7]
	global_store_dwordx2 v[0:1], v[2:3], off
	s_endpgm
	.section	.rodata,"a",@progbits
	.p2align	6, 0x0
	.amdhsa_kernel _Z17test_page_migrateImEvPT_S0_
		.amdhsa_group_segment_fixed_size 0
		.amdhsa_private_segment_fixed_size 0
		.amdhsa_kernarg_size 272
		.amdhsa_user_sgpr_count 2
		.amdhsa_user_sgpr_dispatch_ptr 0
		.amdhsa_user_sgpr_queue_ptr 0
		.amdhsa_user_sgpr_kernarg_segment_ptr 1
		.amdhsa_user_sgpr_dispatch_id 0
		.amdhsa_user_sgpr_kernarg_preload_length 0
		.amdhsa_user_sgpr_kernarg_preload_offset 0
		.amdhsa_user_sgpr_private_segment_size 0
		.amdhsa_uses_dynamic_stack 0
		.amdhsa_enable_private_segment 0
		.amdhsa_system_sgpr_workgroup_id_x 1
		.amdhsa_system_sgpr_workgroup_id_y 0
		.amdhsa_system_sgpr_workgroup_id_z 0
		.amdhsa_system_sgpr_workgroup_info 0
		.amdhsa_system_vgpr_workitem_id 0
		.amdhsa_next_free_vgpr 4
		.amdhsa_next_free_sgpr 8
		.amdhsa_accum_offset 4
		.amdhsa_reserve_vcc 0
		.amdhsa_float_round_mode_32 0
		.amdhsa_float_round_mode_16_64 0
		.amdhsa_float_denorm_mode_32 3
		.amdhsa_float_denorm_mode_16_64 3
		.amdhsa_dx10_clamp 1
		.amdhsa_ieee_mode 1
		.amdhsa_fp16_overflow 0
		.amdhsa_tg_split 0
		.amdhsa_exception_fp_ieee_invalid_op 0
		.amdhsa_exception_fp_denorm_src 0
		.amdhsa_exception_fp_ieee_div_zero 0
		.amdhsa_exception_fp_ieee_overflow 0
		.amdhsa_exception_fp_ieee_underflow 0
		.amdhsa_exception_fp_ieee_inexact 0
		.amdhsa_exception_int_div_zero 0
	.end_amdhsa_kernel
	.section	.text._Z17test_page_migrateImEvPT_S0_,"axG",@progbits,_Z17test_page_migrateImEvPT_S0_,comdat
.Lfunc_end4:
	.size	_Z17test_page_migrateImEvPT_S0_, .Lfunc_end4-_Z17test_page_migrateImEvPT_S0_
                                        ; -- End function
	.section	.AMDGPU.csdata,"",@progbits
; Kernel info:
; codeLenInByte = 88
; NumSgprs: 14
; NumVgprs: 4
; NumAgprs: 0
; TotalNumVgprs: 4
; ScratchSize: 0
; MemoryBound: 0
; FloatMode: 240
; IeeeMode: 1
; LDSByteSize: 0 bytes/workgroup (compile time only)
; SGPRBlocks: 1
; VGPRBlocks: 0
; NumSGPRsForWavesPerEU: 14
; NumVGPRsForWavesPerEU: 4
; AccumOffset: 4
; Occupancy: 8
; WaveLimiterHint : 0
; COMPUTE_PGM_RSRC2:SCRATCH_EN: 0
; COMPUTE_PGM_RSRC2:USER_SGPR: 2
; COMPUTE_PGM_RSRC2:TRAP_HANDLER: 0
; COMPUTE_PGM_RSRC2:TGID_X_EN: 1
; COMPUTE_PGM_RSRC2:TGID_Y_EN: 0
; COMPUTE_PGM_RSRC2:TGID_Z_EN: 0
; COMPUTE_PGM_RSRC2:TIDIG_COMP_CNT: 0
; COMPUTE_PGM_RSRC3_GFX90A:ACCUM_OFFSET: 0
; COMPUTE_PGM_RSRC3_GFX90A:TG_SPLIT: 0
	.text
	.p2alignl 6, 3212836864
	.fill 256, 4, 3212836864
	.type	__hip_cuid_d2ef29391d0d4424,@object ; @__hip_cuid_d2ef29391d0d4424
	.section	.bss,"aw",@nobits
	.globl	__hip_cuid_d2ef29391d0d4424
__hip_cuid_d2ef29391d0d4424:
	.byte	0                               ; 0x0
	.size	__hip_cuid_d2ef29391d0d4424, 1

	.ident	"AMD clang version 19.0.0git (https://github.com/RadeonOpenCompute/llvm-project roc-6.4.0 25133 c7fe45cf4b819c5991fe208aaa96edf142730f1d)"
	.section	".note.GNU-stack","",@progbits
	.addrsig
	.addrsig_sym __hip_cuid_d2ef29391d0d4424
	.amdgpu_metadata
---
amdhsa.kernels:
  - .agpr_count:     0
    .args:
      - .address_space:  global
        .offset:         0
        .size:           8
        .value_kind:     global_buffer
      - .address_space:  global
        .offset:         8
        .size:           8
        .value_kind:     global_buffer
      - .offset:         16
        .size:           4
        .value_kind:     by_value
      - .offset:         20
        .size:           4
        .value_kind:     by_value
      - .offset:         24
        .size:           4
        .value_kind:     hidden_block_count_x
      - .offset:         28
        .size:           4
        .value_kind:     hidden_block_count_y
      - .offset:         32
        .size:           4
        .value_kind:     hidden_block_count_z
      - .offset:         36
        .size:           2
        .value_kind:     hidden_group_size_x
      - .offset:         38
        .size:           2
        .value_kind:     hidden_group_size_y
      - .offset:         40
        .size:           2
        .value_kind:     hidden_group_size_z
      - .offset:         42
        .size:           2
        .value_kind:     hidden_remainder_x
      - .offset:         44
        .size:           2
        .value_kind:     hidden_remainder_y
      - .offset:         46
        .size:           2
        .value_kind:     hidden_remainder_z
      - .offset:         64
        .size:           8
        .value_kind:     hidden_global_offset_x
      - .offset:         72
        .size:           8
        .value_kind:     hidden_global_offset_y
      - .offset:         80
        .size:           8
        .value_kind:     hidden_global_offset_z
      - .offset:         88
        .size:           2
        .value_kind:     hidden_grid_dims
    .group_segment_fixed_size: 4096
    .kernarg_segment_align: 8
    .kernarg_segment_size: 280
    .language:       OpenCL C
    .language_version:
      - 2
      - 0
    .max_flat_workgroup_size: 1024
    .name:           _Z9transposePKiPiii
    .private_segment_fixed_size: 0
    .sgpr_count:     17
    .sgpr_spill_count: 0
    .symbol:         _Z9transposePKiPiii.kd
    .uniform_work_group_size: 1
    .uses_dynamic_stack: false
    .vgpr_count:     7
    .vgpr_spill_count: 0
    .wavefront_size: 64
  - .agpr_count:     0
    .args:
      - .address_space:  global
        .offset:         0
        .size:           8
        .value_kind:     global_buffer
    .group_segment_fixed_size: 0
    .kernarg_segment_align: 8
    .kernarg_segment_size: 8
    .language:       OpenCL C
    .language_version:
      - 2
      - 0
    .max_flat_workgroup_size: 1024
    .name:           _Z15test_kern_largePm
    .private_segment_fixed_size: 16016
    .sgpr_count:     14
    .sgpr_spill_count: 0
    .symbol:         _Z15test_kern_largePm.kd
    .uniform_work_group_size: 1
    .uses_dynamic_stack: false
    .vgpr_count:     36
    .vgpr_spill_count: 0
    .wavefront_size: 64
  - .agpr_count:     0
    .args:
      - .address_space:  global
        .offset:         0
        .size:           8
        .value_kind:     global_buffer
    .group_segment_fixed_size: 0
    .kernarg_segment_align: 8
    .kernarg_segment_size: 8
    .language:       OpenCL C
    .language_version:
      - 2
      - 0
    .max_flat_workgroup_size: 1024
    .name:           _Z16test_kern_mediumPm
    .private_segment_fixed_size: 704
    .sgpr_count:     14
    .sgpr_spill_count: 0
    .symbol:         _Z16test_kern_mediumPm.kd
    .uniform_work_group_size: 1
    .uses_dynamic_stack: false
    .vgpr_count:     70
    .vgpr_spill_count: 0
    .wavefront_size: 64
  - .agpr_count:     0
    .args:
      - .address_space:  global
        .offset:         0
        .size:           8
        .value_kind:     global_buffer
    .group_segment_fixed_size: 0
    .kernarg_segment_align: 8
    .kernarg_segment_size: 8
    .language:       OpenCL C
    .language_version:
      - 2
      - 0
    .max_flat_workgroup_size: 1024
    .name:           _Z15test_kern_smallPm
    .private_segment_fixed_size: 0
    .sgpr_count:     6
    .sgpr_spill_count: 0
    .symbol:         _Z15test_kern_smallPm.kd
    .uniform_work_group_size: 1
    .uses_dynamic_stack: false
    .vgpr_count:     0
    .vgpr_spill_count: 0
    .wavefront_size: 64
  - .agpr_count:     0
    .args:
      - .address_space:  global
        .offset:         0
        .size:           8
        .value_kind:     global_buffer
      - .offset:         8
        .size:           8
        .value_kind:     by_value
      - .offset:         16
        .size:           4
        .value_kind:     hidden_block_count_x
      - .offset:         20
        .size:           4
        .value_kind:     hidden_block_count_y
      - .offset:         24
        .size:           4
        .value_kind:     hidden_block_count_z
      - .offset:         28
        .size:           2
        .value_kind:     hidden_group_size_x
      - .offset:         30
        .size:           2
        .value_kind:     hidden_group_size_y
      - .offset:         32
        .size:           2
        .value_kind:     hidden_group_size_z
      - .offset:         34
        .size:           2
        .value_kind:     hidden_remainder_x
      - .offset:         36
        .size:           2
        .value_kind:     hidden_remainder_y
      - .offset:         38
        .size:           2
        .value_kind:     hidden_remainder_z
      - .offset:         56
        .size:           8
        .value_kind:     hidden_global_offset_x
      - .offset:         64
        .size:           8
        .value_kind:     hidden_global_offset_y
      - .offset:         72
        .size:           8
        .value_kind:     hidden_global_offset_z
      - .offset:         80
        .size:           2
        .value_kind:     hidden_grid_dims
    .group_segment_fixed_size: 0
    .kernarg_segment_align: 8
    .kernarg_segment_size: 272
    .language:       OpenCL C
    .language_version:
      - 2
      - 0
    .max_flat_workgroup_size: 1024
    .name:           _Z17test_page_migrateImEvPT_S0_
    .private_segment_fixed_size: 0
    .sgpr_count:     14
    .sgpr_spill_count: 0
    .symbol:         _Z17test_page_migrateImEvPT_S0_.kd
    .uniform_work_group_size: 1
    .uses_dynamic_stack: false
    .vgpr_count:     4
    .vgpr_spill_count: 0
    .wavefront_size: 64
amdhsa.target:   amdgcn-amd-amdhsa--gfx942
amdhsa.version:
  - 1
  - 2
...

	.end_amdgpu_metadata
